;; amdgpu-corpus repo=zjin-lcf/HeCBench kind=compiled arch=gfx1201 opt=O3
	.amdgcn_target "amdgcn-amd-amdhsa--gfx1201"
	.amdhsa_code_object_version 6
	.text
	.protected	_Z15test_keystreamsPKcS0_S0_PKhPhS3_S3_S3_iii ; -- Begin function _Z15test_keystreamsPKcS0_S0_PKhPhS3_S3_S3_iii
	.globl	_Z15test_keystreamsPKcS0_S0_PKhPhS3_S3_S3_iii
	.p2align	8
	.type	_Z15test_keystreamsPKcS0_S0_PKhPhS3_S3_S3_iii,@function
_Z15test_keystreamsPKcS0_S0_PKhPhS3_S3_S3_iii: ; @_Z15test_keystreamsPKcS0_S0_PKhPhS3_S3_S3_iii
; %bb.0:
	s_clause 0x2
	s_load_b96 s[4:6], s[0:1], 0x40
	s_load_b128 s[8:11], s[0:1], 0x18
	s_load_b64 s[14:15], s[0:1], 0x28
	v_dual_mov_b32 v6, v0 :: v_dual_add_nc_u32 v1, 1, v0
	s_mov_b32 s16, exec_lo
	s_wait_kmcnt 0x0
	s_lshr_b32 s2, s4, 31
	s_delay_alu instid0(SALU_CYCLE_1) | instskip(NEXT) | instid1(SALU_CYCLE_1)
	s_add_co_i32 s2, s4, s2
	s_ashr_i32 s7, s2, 1
	s_delay_alu instid0(SALU_CYCLE_1)
	v_cmpx_gt_i32_e64 s7, v0
	s_cbranch_execz .LBB0_8
; %bb.1:
	s_clause 0x1
	s_load_b32 s2, s[0:1], 0x5c
	s_load_b64 s[12:13], s[0:1], 0x0
	v_max_i32_e32 v2, s7, v1
	v_mov_b32_e32 v4, v6
	s_delay_alu instid0(VALU_DEP_2) | instskip(NEXT) | instid1(VALU_DEP_1)
	v_sub_nc_u32_e32 v7, v2, v0
	v_cmp_lt_u32_e32 vcc_lo, 3, v7
	s_wait_kmcnt 0x0
	s_and_b32 s17, s2, 0xffff
	s_delay_alu instid0(SALU_CYCLE_1) | instskip(SKIP_1) | instid1(SALU_CYCLE_1)
	s_cmp_eq_u32 s17, 1
	s_cselect_b32 s2, -1, 0
	s_and_b32 s3, vcc_lo, s2
	s_mov_b32 s2, -1
	s_and_saveexec_b32 s18, s3
	s_cbranch_execz .LBB0_5
; %bb.2:
	v_dual_mov_b32 v9, v6 :: v_dual_and_b32 v8, -4, v7
	v_add_nc_u32_e32 v3, 3, v0
	v_add_nc_u32_e32 v2, 2, v0
	s_mov_b32 s19, 0
	s_delay_alu instid0(VALU_DEP_2) | instskip(NEXT) | instid1(VALU_DEP_2)
	v_dual_mov_b32 v10, v8 :: v_dual_mov_b32 v5, v3
	v_dual_mov_b32 v4, v2 :: v_dual_mov_b32 v3, v1
	v_mov_b32_e32 v2, v0
.LBB0_3:                                ; =>This Inner Loop Header: Depth=1
	s_delay_alu instid0(VALU_DEP_1) | instskip(NEXT) | instid1(VALU_DEP_3)
	v_lshlrev_b32_e32 v11, 1, v2
	v_lshlrev_b32_e32 v13, 1, v4
	v_add_nc_u32_e32 v10, -4, v10
	v_add_nc_u32_e32 v4, 4, v4
	v_add_nc_u32_e32 v2, 4, v2
	v_add_co_u32 v11, s2, s12, v11
	s_wait_alu 0xf1ff
	v_add_co_ci_u32_e64 v12, null, s13, 0, s2
	v_add_co_u32 v13, s2, s12, v13
	s_wait_alu 0xf1ff
	v_add_co_ci_u32_e64 v14, null, s13, 0, s2
	s_clause 0x1
	global_load_u16 v15, v[11:12], off
	global_load_u16 v16, v[13:14], off
	v_lshlrev_b32_e32 v11, 1, v3
	v_lshlrev_b32_e32 v13, 1, v5
	v_add_nc_u32_e32 v5, 4, v5
	v_add_nc_u32_e32 v3, 4, v3
	s_delay_alu instid0(VALU_DEP_4)
	v_add_co_u32 v11, s2, s12, v11
	s_wait_alu 0xf1ff
	v_add_co_ci_u32_e64 v12, null, s13, 0, s2
	v_add_co_u32 v13, s2, s12, v13
	s_wait_alu 0xf1ff
	v_add_co_ci_u32_e64 v14, null, s13, 0, s2
	s_wait_loadcnt 0x0
	v_dual_mov_b32 v17, v15 :: v_dual_mov_b32 v18, v16
	s_clause 0x1
	global_load_d16_hi_b16 v17, v[11:12], off
	global_load_d16_hi_b16 v18, v[13:14], off
	v_lshrrev_b16 v11, 8, v16
	v_lshrrev_b16 v12, 8, v15
	s_delay_alu instid0(VALU_DEP_2) | instskip(NEXT) | instid1(VALU_DEP_2)
	v_bfe_i32 v11, v11, 0, 8
	v_bfe_i32 v12, v12, 0, 8
	s_delay_alu instid0(VALU_DEP_2) | instskip(SKIP_1) | instid1(VALU_DEP_3)
	v_ashrrev_i32_e32 v15, 31, v11
	v_add_co_u32 v11, vcc_lo, s8, v11
	v_ashrrev_i32_e32 v14, 31, v12
	v_add_co_u32 v13, s2, s8, v12
	s_wait_alu 0xfffd
	v_add_co_ci_u32_e64 v12, null, s9, v15, vcc_lo
	s_wait_alu 0xf1ff
	v_add_co_ci_u32_e64 v14, null, s9, v14, s2
	s_wait_loadcnt 0x1
	v_lshrrev_b32_e32 v19, 16, v17
	v_bfe_i32 v20, v17, 0, 8
	s_wait_loadcnt 0x0
	v_lshrrev_b32_e32 v15, 16, v18
	v_lshrrev_b32_e32 v21, 24, v17
	v_bfe_i32 v16, v18, 0, 8
	v_lshrrev_b32_e32 v18, 24, v18
	v_bfe_i32 v24, v19, 0, 8
	v_ashrrev_i32_e32 v19, 31, v20
	v_bfe_i32 v22, v15, 0, 8
	v_add_co_u32 v15, vcc_lo, s8, v20
	v_bfe_i32 v21, v21, 0, 8
	v_bfe_i32 v20, v18, 0, 8
	v_ashrrev_i32_e32 v23, 31, v16
	v_add_co_u32 v17, s2, s8, v16
	s_wait_alu 0xfffd
	v_add_co_ci_u32_e64 v16, null, s9, v19, vcc_lo
	v_ashrrev_i32_e32 v26, 31, v24
	v_ashrrev_i32_e32 v27, 31, v22
	v_add_co_u32 v19, vcc_lo, s8, v22
	v_ashrrev_i32_e32 v22, 31, v21
	v_ashrrev_i32_e32 v28, 31, v20
	v_add_co_u32 v25, s4, s8, v24
	global_load_u8 v15, v[15:16], off
	s_wait_alu 0xf1ff
	v_add_co_ci_u32_e64 v18, null, s9, v23, s2
	v_add_co_u32 v21, s2, s8, v21
	v_add_co_u32 v23, s3, s8, v20
	v_add_co_ci_u32_e64 v26, null, s9, v26, s4
	s_wait_alu 0xf1ff
	v_add_co_ci_u32_e64 v22, null, s9, v22, s2
	v_add_co_ci_u32_e64 v24, null, s9, v28, s3
	s_wait_alu 0xfffd
	v_add_co_ci_u32_e64 v20, null, s9, v27, vcc_lo
	s_clause 0x6
	global_load_u8 v16, v[17:18], off
	global_load_u8 v17, v[25:26], off
	;; [unrolled: 1-line block ×7, first 2 shown]
	v_cmp_eq_u32_e32 vcc_lo, 0, v10
	s_or_b32 s19, vcc_lo, s19
	s_wait_loadcnt 0x7
	v_lshlrev_b16 v12, 4, v15
	s_delay_alu instid0(VALU_DEP_1)
	v_and_b32_e32 v12, 0xf0, v12
	s_wait_loadcnt 0x6
	v_lshlrev_b16 v14, 4, v16
	s_wait_loadcnt 0x5
	v_lshlrev_b16 v16, 12, v17
	;; [unrolled: 2-line block ×5, first 2 shown]
	v_and_b32_e32 v14, 0xf0, v14
	s_wait_loadcnt 0x1
	v_or_b32_e32 v12, v13, v12
	v_or_b32_e32 v15, v16, v15
	;; [unrolled: 1-line block ×3, first 2 shown]
	s_wait_loadcnt 0x0
	v_or_b32_e32 v11, v11, v14
	s_delay_alu instid0(VALU_DEP_3) | instskip(NEXT) | instid1(VALU_DEP_2)
	v_or_b32_e32 v12, v12, v15
	v_or_b32_e32 v11, v11, v13
	s_delay_alu instid0(VALU_DEP_2) | instskip(NEXT) | instid1(VALU_DEP_2)
	v_and_b32_e32 v12, 0xffff, v12
	v_lshlrev_b32_e32 v11, 16, v11
	s_delay_alu instid0(VALU_DEP_1)
	v_or_b32_e32 v11, v12, v11
	global_store_b32 v9, v11, s[10:11]
	v_add_nc_u32_e32 v9, 4, v9
	s_and_not1_b32 exec_lo, exec_lo, s19
	s_cbranch_execnz .LBB0_3
; %bb.4:
	s_or_b32 exec_lo, exec_lo, s19
	v_cmp_ne_u32_e32 vcc_lo, v7, v8
	v_add_nc_u32_e32 v4, v0, v8
	s_or_not1_b32 s2, vcc_lo, exec_lo
.LBB0_5:
	s_or_b32 exec_lo, exec_lo, s18
	s_wait_alu 0xfffe
	s_and_b32 exec_lo, exec_lo, s2
	s_cbranch_execz .LBB0_8
; %bb.6:
	v_dual_mov_b32 v5, 0 :: v_dual_lshlrev_b32 v2, 1, v4
	s_mov_b32 s3, 0
	s_lshl_b32 s4, s17, 1
	s_delay_alu instid0(VALU_DEP_1) | instskip(SKIP_2) | instid1(VALU_DEP_2)
	v_add_co_u32 v2, s2, s12, v2
	s_wait_alu 0xf1ff
	v_add_co_ci_u32_e64 v3, null, s13, 0, s2
	v_add_co_u32 v2, vcc_lo, v2, 1
	s_wait_alu 0xfffd
	s_delay_alu instid0(VALU_DEP_2)
	v_add_co_ci_u32_e64 v3, null, 0, v3, vcc_lo
.LBB0_7:                                ; =>This Inner Loop Header: Depth=1
	global_load_u16 v7, v[2:3], off offset:-1
	s_wait_loadcnt 0x0
	v_lshrrev_b16 v8, 8, v7
	v_bfe_i32 v7, v7, 0, 8
	s_delay_alu instid0(VALU_DEP_2) | instskip(NEXT) | instid1(VALU_DEP_2)
	v_bfe_i32 v9, v8, 0, 8
	v_ashrrev_i32_e32 v8, 31, v7
	v_add_co_u32 v7, vcc_lo, s8, v7
	s_delay_alu instid0(VALU_DEP_3) | instskip(SKIP_1) | instid1(VALU_DEP_3)
	v_ashrrev_i32_e32 v10, 31, v9
	s_wait_alu 0xfffd
	v_add_co_ci_u32_e64 v8, null, s9, v8, vcc_lo
	v_add_co_u32 v9, vcc_lo, s8, v9
	s_wait_alu 0xfffd
	v_add_co_ci_u32_e64 v10, null, s9, v10, vcc_lo
	s_clause 0x1
	global_load_u8 v11, v[7:8], off
	global_load_u8 v9, v[9:10], off
	v_add_co_u32 v7, vcc_lo, s10, v4
	s_wait_alu 0xfffd
	v_add_co_ci_u32_e64 v8, null, s11, v5, vcc_lo
	v_add_co_u32 v4, vcc_lo, v4, s17
	s_wait_alu 0xfffd
	v_add_co_ci_u32_e64 v5, null, 0, v5, vcc_lo
	s_wait_alu 0xfffe
	v_add_co_u32 v2, vcc_lo, v2, s4
	v_cmp_le_i32_e64 s2, s7, v4
	s_wait_alu 0xfffd
	v_add_co_ci_u32_e64 v3, null, 0, v3, vcc_lo
	s_or_b32 s3, s2, s3
	s_wait_loadcnt 0x1
	v_lshlrev_b16 v10, 4, v11
	s_wait_loadcnt 0x0
	s_delay_alu instid0(VALU_DEP_1)
	v_or_b32_e32 v9, v9, v10
	global_store_b8 v[7:8], v9, off
	s_wait_alu 0xfffe
	s_and_not1_b32 exec_lo, exec_lo, s3
	s_cbranch_execnz .LBB0_7
.LBB0_8:
	s_or_b32 exec_lo, exec_lo, s16
	s_lshr_b32 s2, s5, 31
	s_mov_b32 s7, exec_lo
	s_wait_alu 0xfffe
	s_add_co_i32 s2, s5, s2
	s_wait_alu 0xfffe
	s_ashr_i32 s5, s2, 1
	s_wait_alu 0xfffe
	v_cmpx_gt_i32_e64 s5, v0
	s_cbranch_execz .LBB0_16
; %bb.9:
	s_clause 0x1
	s_load_b32 s2, s[0:1], 0x5c
	s_load_b64 s[12:13], s[0:1], 0x8
	v_max_i32_e32 v2, s5, v1
	v_mov_b32_e32 v4, v6
	s_delay_alu instid0(VALU_DEP_2) | instskip(NEXT) | instid1(VALU_DEP_1)
	v_sub_nc_u32_e32 v7, v2, v0
	v_cmp_lt_u32_e32 vcc_lo, 3, v7
	s_wait_kmcnt 0x0
	s_and_b32 s16, s2, 0xffff
	s_wait_alu 0xfffe
	s_cmp_eq_u32 s16, 1
	s_cselect_b32 s2, -1, 0
	s_wait_alu 0xfffe
	s_and_b32 s3, vcc_lo, s2
	s_mov_b32 s2, -1
	s_wait_alu 0xfffe
	s_and_saveexec_b32 s17, s3
	s_cbranch_execz .LBB0_13
; %bb.10:
	v_dual_mov_b32 v9, v6 :: v_dual_and_b32 v8, -4, v7
	v_add_nc_u32_e32 v3, 3, v0
	v_add_nc_u32_e32 v2, 2, v0
	s_mov_b32 s18, 0
	s_delay_alu instid0(VALU_DEP_2) | instskip(NEXT) | instid1(VALU_DEP_2)
	v_dual_mov_b32 v10, v8 :: v_dual_mov_b32 v5, v3
	v_dual_mov_b32 v4, v2 :: v_dual_mov_b32 v3, v1
	v_mov_b32_e32 v2, v0
.LBB0_11:                               ; =>This Inner Loop Header: Depth=1
	s_delay_alu instid0(VALU_DEP_1) | instskip(NEXT) | instid1(VALU_DEP_3)
	v_lshlrev_b32_e32 v11, 1, v2
	v_lshlrev_b32_e32 v13, 1, v4
	v_add_nc_u32_e32 v10, -4, v10
	v_add_nc_u32_e32 v4, 4, v4
	v_add_nc_u32_e32 v2, 4, v2
	v_add_co_u32 v11, s2, s12, v11
	s_wait_alu 0xf1ff
	v_add_co_ci_u32_e64 v12, null, s13, 0, s2
	v_add_co_u32 v13, s2, s12, v13
	s_wait_alu 0xf1ff
	v_add_co_ci_u32_e64 v14, null, s13, 0, s2
	s_clause 0x1
	global_load_u16 v15, v[11:12], off
	global_load_u16 v16, v[13:14], off
	v_lshlrev_b32_e32 v11, 1, v3
	v_lshlrev_b32_e32 v13, 1, v5
	v_add_nc_u32_e32 v5, 4, v5
	v_add_nc_u32_e32 v3, 4, v3
	s_delay_alu instid0(VALU_DEP_4)
	v_add_co_u32 v11, s2, s12, v11
	s_wait_alu 0xf1ff
	v_add_co_ci_u32_e64 v12, null, s13, 0, s2
	v_add_co_u32 v13, s2, s12, v13
	s_wait_alu 0xf1ff
	v_add_co_ci_u32_e64 v14, null, s13, 0, s2
	s_wait_loadcnt 0x0
	v_dual_mov_b32 v17, v15 :: v_dual_mov_b32 v18, v16
	s_clause 0x1
	global_load_d16_hi_b16 v17, v[11:12], off
	global_load_d16_hi_b16 v18, v[13:14], off
	v_lshrrev_b16 v11, 8, v16
	v_lshrrev_b16 v12, 8, v15
	s_delay_alu instid0(VALU_DEP_2) | instskip(NEXT) | instid1(VALU_DEP_2)
	v_bfe_i32 v11, v11, 0, 8
	v_bfe_i32 v12, v12, 0, 8
	s_delay_alu instid0(VALU_DEP_2) | instskip(SKIP_1) | instid1(VALU_DEP_3)
	v_ashrrev_i32_e32 v15, 31, v11
	v_add_co_u32 v11, vcc_lo, s8, v11
	v_ashrrev_i32_e32 v14, 31, v12
	v_add_co_u32 v13, s2, s8, v12
	s_wait_alu 0xfffd
	v_add_co_ci_u32_e64 v12, null, s9, v15, vcc_lo
	s_wait_alu 0xf1ff
	v_add_co_ci_u32_e64 v14, null, s9, v14, s2
	s_wait_loadcnt 0x1
	v_lshrrev_b32_e32 v19, 16, v17
	v_bfe_i32 v20, v17, 0, 8
	s_wait_loadcnt 0x0
	v_lshrrev_b32_e32 v15, 16, v18
	v_lshrrev_b32_e32 v21, 24, v17
	v_bfe_i32 v16, v18, 0, 8
	v_lshrrev_b32_e32 v18, 24, v18
	v_bfe_i32 v24, v19, 0, 8
	v_ashrrev_i32_e32 v19, 31, v20
	v_bfe_i32 v22, v15, 0, 8
	v_add_co_u32 v15, vcc_lo, s8, v20
	v_bfe_i32 v21, v21, 0, 8
	v_bfe_i32 v20, v18, 0, 8
	v_ashrrev_i32_e32 v23, 31, v16
	v_add_co_u32 v17, s2, s8, v16
	s_wait_alu 0xfffd
	v_add_co_ci_u32_e64 v16, null, s9, v19, vcc_lo
	v_ashrrev_i32_e32 v26, 31, v24
	v_ashrrev_i32_e32 v27, 31, v22
	v_add_co_u32 v19, vcc_lo, s8, v22
	v_ashrrev_i32_e32 v22, 31, v21
	v_ashrrev_i32_e32 v28, 31, v20
	v_add_co_u32 v25, s4, s8, v24
	global_load_u8 v15, v[15:16], off
	s_wait_alu 0xf1ff
	v_add_co_ci_u32_e64 v18, null, s9, v23, s2
	v_add_co_u32 v21, s2, s8, v21
	v_add_co_u32 v23, s3, s8, v20
	v_add_co_ci_u32_e64 v26, null, s9, v26, s4
	s_wait_alu 0xf1ff
	v_add_co_ci_u32_e64 v22, null, s9, v22, s2
	v_add_co_ci_u32_e64 v24, null, s9, v28, s3
	s_wait_alu 0xfffd
	v_add_co_ci_u32_e64 v20, null, s9, v27, vcc_lo
	s_clause 0x6
	global_load_u8 v16, v[17:18], off
	global_load_u8 v17, v[25:26], off
	;; [unrolled: 1-line block ×7, first 2 shown]
	v_cmp_eq_u32_e32 vcc_lo, 0, v10
	s_or_b32 s18, vcc_lo, s18
	s_wait_loadcnt 0x7
	v_lshlrev_b16 v12, 4, v15
	s_delay_alu instid0(VALU_DEP_1)
	v_and_b32_e32 v12, 0xf0, v12
	s_wait_loadcnt 0x6
	v_lshlrev_b16 v14, 4, v16
	s_wait_loadcnt 0x5
	v_lshlrev_b16 v16, 12, v17
	;; [unrolled: 2-line block ×5, first 2 shown]
	v_and_b32_e32 v14, 0xf0, v14
	s_wait_loadcnt 0x1
	v_or_b32_e32 v12, v13, v12
	v_or_b32_e32 v15, v16, v15
	;; [unrolled: 1-line block ×3, first 2 shown]
	s_wait_loadcnt 0x0
	v_or_b32_e32 v11, v11, v14
	s_delay_alu instid0(VALU_DEP_3) | instskip(NEXT) | instid1(VALU_DEP_2)
	v_or_b32_e32 v12, v12, v15
	v_or_b32_e32 v11, v11, v13
	s_delay_alu instid0(VALU_DEP_2) | instskip(NEXT) | instid1(VALU_DEP_2)
	v_and_b32_e32 v12, 0xffff, v12
	v_lshlrev_b32_e32 v11, 16, v11
	s_delay_alu instid0(VALU_DEP_1)
	v_or_b32_e32 v11, v12, v11
	global_store_b32 v9, v11, s[14:15]
	v_add_nc_u32_e32 v9, 4, v9
	s_and_not1_b32 exec_lo, exec_lo, s18
	s_cbranch_execnz .LBB0_11
; %bb.12:
	s_or_b32 exec_lo, exec_lo, s18
	v_cmp_ne_u32_e32 vcc_lo, v7, v8
	v_add_nc_u32_e32 v4, v0, v8
	s_or_not1_b32 s2, vcc_lo, exec_lo
.LBB0_13:
	s_wait_alu 0xfffe
	s_or_b32 exec_lo, exec_lo, s17
	s_delay_alu instid0(SALU_CYCLE_1)
	s_and_b32 exec_lo, exec_lo, s2
	s_cbranch_execz .LBB0_16
; %bb.14:
	v_dual_mov_b32 v5, 0 :: v_dual_lshlrev_b32 v2, 1, v4
	s_mov_b32 s3, 0
	s_lshl_b32 s4, s16, 1
	s_delay_alu instid0(VALU_DEP_1) | instskip(SKIP_2) | instid1(VALU_DEP_2)
	v_add_co_u32 v2, s2, s12, v2
	s_wait_alu 0xf1ff
	v_add_co_ci_u32_e64 v3, null, s13, 0, s2
	v_add_co_u32 v2, vcc_lo, v2, 1
	s_wait_alu 0xfffd
	s_delay_alu instid0(VALU_DEP_2)
	v_add_co_ci_u32_e64 v3, null, 0, v3, vcc_lo
.LBB0_15:                               ; =>This Inner Loop Header: Depth=1
	global_load_u16 v7, v[2:3], off offset:-1
	s_wait_loadcnt 0x0
	v_lshrrev_b16 v8, 8, v7
	v_bfe_i32 v7, v7, 0, 8
	s_delay_alu instid0(VALU_DEP_2) | instskip(NEXT) | instid1(VALU_DEP_2)
	v_bfe_i32 v9, v8, 0, 8
	v_ashrrev_i32_e32 v8, 31, v7
	v_add_co_u32 v7, vcc_lo, s8, v7
	s_delay_alu instid0(VALU_DEP_3) | instskip(SKIP_1) | instid1(VALU_DEP_3)
	v_ashrrev_i32_e32 v10, 31, v9
	s_wait_alu 0xfffd
	v_add_co_ci_u32_e64 v8, null, s9, v8, vcc_lo
	v_add_co_u32 v9, vcc_lo, s8, v9
	s_wait_alu 0xfffd
	v_add_co_ci_u32_e64 v10, null, s9, v10, vcc_lo
	s_clause 0x1
	global_load_u8 v11, v[7:8], off
	global_load_u8 v9, v[9:10], off
	v_add_co_u32 v7, vcc_lo, s14, v4
	s_wait_alu 0xfffd
	v_add_co_ci_u32_e64 v8, null, s15, v5, vcc_lo
	v_add_co_u32 v4, vcc_lo, v4, s16
	s_wait_alu 0xfffd
	v_add_co_ci_u32_e64 v5, null, 0, v5, vcc_lo
	s_wait_alu 0xfffe
	v_add_co_u32 v2, vcc_lo, v2, s4
	v_cmp_le_i32_e64 s2, s5, v4
	s_wait_alu 0xfffd
	v_add_co_ci_u32_e64 v3, null, 0, v3, vcc_lo
	s_or_b32 s3, s2, s3
	s_wait_loadcnt 0x1
	v_lshlrev_b16 v10, 4, v11
	s_wait_loadcnt 0x0
	s_delay_alu instid0(VALU_DEP_1)
	v_or_b32_e32 v9, v9, v10
	global_store_b8 v[7:8], v9, off
	s_wait_alu 0xfffe
	s_and_not1_b32 exec_lo, exec_lo, s3
	s_cbranch_execnz .LBB0_15
.LBB0_16:
	s_or_b32 exec_lo, exec_lo, s7
	s_lshr_b32 s2, s6, 31
	s_mov_b32 s5, exec_lo
	s_wait_alu 0xfffe
	s_add_co_i32 s2, s6, s2
	s_wait_alu 0xfffe
	s_ashr_i32 s12, s2, 1
	s_wait_alu 0xfffe
	v_cmpx_gt_i32_e64 s12, v0
	s_cbranch_execz .LBB0_24
; %bb.17:
	s_clause 0x2
	s_load_b32 s2, s[0:1], 0x5c
	s_load_b64 s[18:19], s[0:1], 0x10
	s_load_b64 s[16:17], s[0:1], 0x30
	v_max_i32_e32 v2, s12, v1
	s_delay_alu instid0(VALU_DEP_1) | instskip(NEXT) | instid1(VALU_DEP_1)
	v_sub_nc_u32_e32 v5, v2, v0
	v_cmp_lt_u32_e32 vcc_lo, 3, v5
	s_wait_kmcnt 0x0
	s_and_b32 s7, s2, 0xffff
	s_wait_alu 0xfffe
	s_cmp_eq_u32 s7, 1
	s_cselect_b32 s2, -1, 0
	s_wait_alu 0xfffe
	s_and_b32 s3, vcc_lo, s2
	s_mov_b32 s2, -1
	s_wait_alu 0xfffe
	s_and_saveexec_b32 s13, s3
	s_cbranch_execz .LBB0_21
; %bb.18:
	v_add_nc_u32_e32 v3, 3, v0
	v_add_nc_u32_e32 v2, 2, v0
	v_and_b32_e32 v7, -4, v5
	s_mov_b32 s20, 0
	s_delay_alu instid0(VALU_DEP_3) | instskip(NEXT) | instid1(VALU_DEP_2)
	v_mov_b32_e32 v4, v3
	v_dual_mov_b32 v3, v2 :: v_dual_mov_b32 v8, v7
	v_mov_b32_e32 v2, v1
	v_mov_b32_e32 v1, v0
.LBB0_19:                               ; =>This Inner Loop Header: Depth=1
	s_delay_alu instid0(VALU_DEP_1) | instskip(NEXT) | instid1(VALU_DEP_4)
	v_lshlrev_b32_e32 v9, 1, v1
	v_lshlrev_b32_e32 v11, 1, v3
	v_add_nc_u32_e32 v8, -4, v8
	v_add_nc_u32_e32 v3, 4, v3
	v_add_nc_u32_e32 v1, 4, v1
	v_add_co_u32 v9, s2, s18, v9
	s_wait_alu 0xf1ff
	v_add_co_ci_u32_e64 v10, null, s19, 0, s2
	v_add_co_u32 v11, s2, s18, v11
	s_wait_alu 0xf1ff
	v_add_co_ci_u32_e64 v12, null, s19, 0, s2
	s_clause 0x1
	global_load_u16 v13, v[9:10], off
	global_load_u16 v14, v[11:12], off
	v_lshlrev_b32_e32 v9, 1, v2
	v_lshlrev_b32_e32 v11, 1, v4
	v_add_nc_u32_e32 v4, 4, v4
	v_add_nc_u32_e32 v2, 4, v2
	s_delay_alu instid0(VALU_DEP_4)
	v_add_co_u32 v9, s2, s18, v9
	s_wait_alu 0xf1ff
	v_add_co_ci_u32_e64 v10, null, s19, 0, s2
	v_add_co_u32 v11, s2, s18, v11
	s_wait_alu 0xf1ff
	v_add_co_ci_u32_e64 v12, null, s19, 0, s2
	s_wait_loadcnt 0x0
	v_dual_mov_b32 v15, v13 :: v_dual_mov_b32 v16, v14
	s_clause 0x1
	global_load_d16_hi_b16 v15, v[9:10], off
	global_load_d16_hi_b16 v16, v[11:12], off
	v_lshrrev_b16 v9, 8, v14
	v_lshrrev_b16 v10, 8, v13
	s_delay_alu instid0(VALU_DEP_2) | instskip(NEXT) | instid1(VALU_DEP_2)
	v_bfe_i32 v9, v9, 0, 8
	v_bfe_i32 v10, v10, 0, 8
	s_delay_alu instid0(VALU_DEP_2) | instskip(SKIP_1) | instid1(VALU_DEP_3)
	v_ashrrev_i32_e32 v13, 31, v9
	v_add_co_u32 v9, vcc_lo, s8, v9
	v_ashrrev_i32_e32 v12, 31, v10
	v_add_co_u32 v11, s2, s8, v10
	s_wait_alu 0xfffd
	v_add_co_ci_u32_e64 v10, null, s9, v13, vcc_lo
	s_wait_alu 0xf1ff
	v_add_co_ci_u32_e64 v12, null, s9, v12, s2
	s_wait_loadcnt 0x1
	v_lshrrev_b32_e32 v17, 16, v15
	v_bfe_i32 v18, v15, 0, 8
	s_wait_loadcnt 0x0
	v_lshrrev_b32_e32 v13, 16, v16
	v_lshrrev_b32_e32 v19, 24, v15
	v_bfe_i32 v14, v16, 0, 8
	v_lshrrev_b32_e32 v16, 24, v16
	v_bfe_i32 v22, v17, 0, 8
	v_ashrrev_i32_e32 v17, 31, v18
	v_bfe_i32 v20, v13, 0, 8
	v_add_co_u32 v13, vcc_lo, s8, v18
	v_bfe_i32 v19, v19, 0, 8
	v_bfe_i32 v18, v16, 0, 8
	v_ashrrev_i32_e32 v21, 31, v14
	v_add_co_u32 v15, s2, s8, v14
	s_wait_alu 0xfffd
	v_add_co_ci_u32_e64 v14, null, s9, v17, vcc_lo
	v_ashrrev_i32_e32 v24, 31, v22
	v_ashrrev_i32_e32 v25, 31, v20
	v_add_co_u32 v17, vcc_lo, s8, v20
	v_ashrrev_i32_e32 v20, 31, v19
	v_ashrrev_i32_e32 v26, 31, v18
	v_add_co_u32 v23, s4, s8, v22
	global_load_u8 v13, v[13:14], off
	s_wait_alu 0xf1ff
	v_add_co_ci_u32_e64 v16, null, s9, v21, s2
	v_add_co_u32 v19, s2, s8, v19
	v_add_co_u32 v21, s3, s8, v18
	v_add_co_ci_u32_e64 v24, null, s9, v24, s4
	s_wait_alu 0xf1ff
	v_add_co_ci_u32_e64 v20, null, s9, v20, s2
	v_add_co_ci_u32_e64 v22, null, s9, v26, s3
	s_wait_alu 0xfffd
	v_add_co_ci_u32_e64 v18, null, s9, v25, vcc_lo
	s_clause 0x6
	global_load_u8 v14, v[15:16], off
	global_load_u8 v15, v[23:24], off
	global_load_u8 v16, v[19:20], off
	global_load_u8 v19, v[21:22], off
	global_load_u8 v17, v[17:18], off
	global_load_u8 v11, v[11:12], off
	global_load_u8 v9, v[9:10], off
	v_cmp_eq_u32_e32 vcc_lo, 0, v8
	s_or_b32 s20, vcc_lo, s20
	s_wait_loadcnt 0x7
	v_lshlrev_b16 v10, 4, v13
	s_delay_alu instid0(VALU_DEP_1)
	v_and_b32_e32 v10, 0xf0, v10
	s_wait_loadcnt 0x6
	v_lshlrev_b16 v12, 4, v14
	s_wait_loadcnt 0x5
	v_lshlrev_b16 v14, 12, v15
	;; [unrolled: 2-line block ×5, first 2 shown]
	v_and_b32_e32 v12, 0xf0, v12
	s_wait_loadcnt 0x1
	v_or_b32_e32 v10, v11, v10
	v_or_b32_e32 v13, v14, v13
	;; [unrolled: 1-line block ×3, first 2 shown]
	s_wait_loadcnt 0x0
	v_or_b32_e32 v9, v9, v12
	s_delay_alu instid0(VALU_DEP_3) | instskip(NEXT) | instid1(VALU_DEP_2)
	v_or_b32_e32 v10, v10, v13
	v_or_b32_e32 v9, v9, v11
	s_delay_alu instid0(VALU_DEP_2) | instskip(NEXT) | instid1(VALU_DEP_2)
	v_and_b32_e32 v10, 0xffff, v10
	v_lshlrev_b32_e32 v9, 16, v9
	s_delay_alu instid0(VALU_DEP_1)
	v_or_b32_e32 v9, v10, v9
	global_store_b32 v6, v9, s[16:17]
	v_add_nc_u32_e32 v6, 4, v6
	s_and_not1_b32 exec_lo, exec_lo, s20
	s_cbranch_execnz .LBB0_19
; %bb.20:
	s_or_b32 exec_lo, exec_lo, s20
	v_cmp_ne_u32_e32 vcc_lo, v5, v7
	v_add_nc_u32_e32 v6, v0, v7
	s_or_not1_b32 s2, vcc_lo, exec_lo
.LBB0_21:
	s_wait_alu 0xfffe
	s_or_b32 exec_lo, exec_lo, s13
	s_delay_alu instid0(SALU_CYCLE_1)
	s_and_b32 exec_lo, exec_lo, s2
	s_cbranch_execz .LBB0_24
; %bb.22:
	v_lshlrev_b32_e32 v1, 1, v6
	v_mov_b32_e32 v3, 0
	s_mov_b32 s3, 0
	s_lshl_b32 s4, s7, 1
	s_delay_alu instid0(VALU_DEP_2) | instskip(SKIP_2) | instid1(VALU_DEP_2)
	v_add_co_u32 v1, s2, s18, v1
	s_wait_alu 0xf1ff
	v_add_co_ci_u32_e64 v2, null, s19, 0, s2
	v_add_co_u32 v1, vcc_lo, v1, 1
	s_wait_alu 0xfffd
	s_delay_alu instid0(VALU_DEP_2)
	v_add_co_ci_u32_e64 v2, null, 0, v2, vcc_lo
.LBB0_23:                               ; =>This Inner Loop Header: Depth=1
	global_load_u16 v4, v[1:2], off offset:-1
	s_wait_loadcnt 0x0
	v_lshrrev_b16 v5, 8, v4
	v_bfe_i32 v4, v4, 0, 8
	s_delay_alu instid0(VALU_DEP_2) | instskip(NEXT) | instid1(VALU_DEP_2)
	v_bfe_i32 v7, v5, 0, 8
	v_ashrrev_i32_e32 v5, 31, v4
	v_add_co_u32 v4, vcc_lo, s8, v4
	s_delay_alu instid0(VALU_DEP_3) | instskip(SKIP_1) | instid1(VALU_DEP_3)
	v_ashrrev_i32_e32 v8, 31, v7
	s_wait_alu 0xfffd
	v_add_co_ci_u32_e64 v5, null, s9, v5, vcc_lo
	v_add_co_u32 v7, vcc_lo, s8, v7
	s_wait_alu 0xfffd
	v_add_co_ci_u32_e64 v8, null, s9, v8, vcc_lo
	s_clause 0x1
	global_load_u8 v9, v[4:5], off
	global_load_u8 v7, v[7:8], off
	v_add_co_u32 v4, vcc_lo, s16, v6
	s_wait_alu 0xfffd
	v_add_co_ci_u32_e64 v5, null, s17, v3, vcc_lo
	v_add_co_u32 v6, vcc_lo, v6, s7
	s_wait_alu 0xfffd
	v_add_co_ci_u32_e64 v3, null, 0, v3, vcc_lo
	s_wait_alu 0xfffe
	v_add_co_u32 v1, vcc_lo, v1, s4
	v_cmp_le_i32_e64 s2, s12, v6
	s_wait_alu 0xfffd
	v_add_co_ci_u32_e64 v2, null, 0, v2, vcc_lo
	s_or_b32 s3, s2, s3
	s_wait_loadcnt 0x1
	v_lshlrev_b16 v8, 4, v9
	s_wait_loadcnt 0x0
	s_delay_alu instid0(VALU_DEP_1)
	v_or_b32_e32 v7, v7, v8
	global_store_b8 v[4:5], v7, off
	s_wait_alu 0xfffe
	s_and_not1_b32 exec_lo, exec_lo, s3
	s_cbranch_execnz .LBB0_23
.LBB0_24:
	s_or_b32 exec_lo, exec_lo, s5
	s_delay_alu instid0(SALU_CYCLE_1)
	s_mov_b32 s2, exec_lo
	v_cmpx_eq_u32_e32 0, v0
	s_cbranch_execz .LBB0_32
; %bb.25:
	v_dual_mov_b32 v11, 64 :: v_dual_mov_b32 v12, 0
	s_add_co_i32 s2, s6, 1
	s_mov_b32 s4, 0
	s_wait_alu 0xfffe
	s_cmp_lt_u32 s2, 3
	scratch_store_b64 off, v[11:12], off offset:128
	s_cbranch_scc1 .LBB0_32
; %bb.26:
	s_clause 0x2
	global_load_b128 v[0:3], v12, s[10:11]
	global_load_b64 v[13:14], v12, s[14:15]
	global_load_b128 v[4:7], v12, s[10:11] offset:16
	s_load_b64 s[0:1], s[0:1], 0x38
	s_ashr_i32 s13, s12, 31
	s_mov_b64 s[2:3], 64
	s_mov_b32 s5, 0
	s_wait_loadcnt 0x2
	v_dual_mov_b32 v25, 0 :: v_dual_add_nc_u32 v8, 0x6b206574, v3
	v_add_nc_u32_e32 v9, 0x79622d32, v2
	v_add_nc_u32_e32 v22, 0x61707865, v0
	s_wait_loadcnt 0x1
	s_delay_alu instid0(VALU_DEP_3) | instskip(NEXT) | instid1(VALU_DEP_3)
	v_xor_b32_e32 v10, v14, v8
	v_xor_b32_e32 v11, v13, v9
	s_delay_alu instid0(VALU_DEP_2) | instskip(NEXT) | instid1(VALU_DEP_2)
	v_alignbit_b32 v10, v10, v10, 16
	v_alignbit_b32 v11, v11, v11, 16
	s_wait_loadcnt 0x0
	s_delay_alu instid0(VALU_DEP_2) | instskip(NEXT) | instid1(VALU_DEP_2)
	v_add_nc_u32_e32 v18, v10, v7
	v_add_nc_u32_e32 v19, v11, v6
	s_delay_alu instid0(VALU_DEP_2) | instskip(NEXT) | instid1(VALU_DEP_2)
	v_xor_b32_e32 v15, v18, v3
	v_xor_b32_e32 v16, v19, v2
	s_delay_alu instid0(VALU_DEP_2) | instskip(NEXT) | instid1(VALU_DEP_2)
	v_alignbit_b32 v20, v15, v15, 20
	v_alignbit_b32 v21, v16, v16, 20
	s_delay_alu instid0(VALU_DEP_2) | instskip(NEXT) | instid1(VALU_DEP_2)
	v_add_nc_u32_e32 v15, v20, v8
	v_add_nc_u32_e32 v8, v21, v9
	s_delay_alu instid0(VALU_DEP_2) | instskip(NEXT) | instid1(VALU_DEP_2)
	v_xor_b32_e32 v9, v15, v10
	v_xor_b32_e32 v10, v8, v11
	s_delay_alu instid0(VALU_DEP_2) | instskip(NEXT) | instid1(VALU_DEP_2)
	v_alignbit_b32 v16, v9, v9, 24
	v_alignbit_b32 v17, v10, v10, 24
	s_delay_alu instid0(VALU_DEP_2) | instskip(NEXT) | instid1(VALU_DEP_2)
	v_add_nc_u32_e32 v18, v16, v18
	v_add_nc_u32_e32 v19, v17, v19
	s_delay_alu instid0(VALU_DEP_2) | instskip(NEXT) | instid1(VALU_DEP_2)
	v_xor_b32_e32 v9, v18, v20
	v_xor_b32_e32 v10, v19, v21
	v_add_nc_u32_e32 v21, 0x3320646e, v1
	s_delay_alu instid0(VALU_DEP_3) | instskip(NEXT) | instid1(VALU_DEP_3)
	v_alignbit_b32 v20, v9, v9, 25
	v_alignbit_b32 v23, v10, v10, 25
	s_delay_alu instid0(VALU_DEP_2)
	v_add_nc_u32_e32 v24, v20, v8
	s_branch .LBB0_28
.LBB0_27:                               ;   in Loop: Header=BB0_28 Depth=1
	s_wait_kmcnt 0x0
	global_load_u8 v9, v12, s[0:1]
	s_add_nc_u64 s[12:13], s[12:13], -1
	s_wait_alu 0xfffe
	s_cmp_lg_u64 s[12:13], 0
	s_wait_loadcnt 0x0
	v_xor_b32_e32 v10, v9, v8
	v_dual_mov_b32 v9, s3 :: v_dual_mov_b32 v8, s2
	global_store_b8 v12, v10, s[0:1]
	s_add_nc_u64 s[0:1], s[0:1], 1
	scratch_store_b64 off, v[8:9], off offset:128
	s_cbranch_scc0 .LBB0_32
.LBB0_28:                               ; =>This Inner Loop Header: Depth=1
	s_wait_alu 0xfffe
	v_cmp_gt_u64_e64 s6, s[2:3], 63
                                        ; implicit-def: $vgpr8
	s_and_b32 vcc_lo, exec_lo, s6
	s_mov_b32 s6, -1
	s_wait_alu 0xfffe
	s_cbranch_vccnz .LBB0_30
; %bb.29:                               ;   in Loop: Header=BB0_28 Depth=1
	scratch_load_u8 v8, off, s2 offset:64
	s_add_nc_u64 s[2:3], s[2:3], 1
	s_mov_b32 s6, 0
.LBB0_30:                               ;   in Loop: Header=BB0_28 Depth=1
	s_wait_alu 0xfffe
	s_and_not1_b32 vcc_lo, exec_lo, s6
	s_wait_alu 0xfffe
	s_cbranch_vccnz .LBB0_27
; %bb.31:                               ;   in Loop: Header=BB0_28 Depth=1
	s_wait_loadcnt 0x0
	v_xor_b32_e32 v8, s5, v21
	v_xor_b32_e32 v9, v25, v22
	v_add_co_u32 v38, s6, v25, 1
	s_add_co_i32 s7, s5, 1
	v_alignbit_b32 v8, v8, v8, 16
	v_alignbit_b32 v9, v9, v9, 16
	s_and_b32 s6, s6, exec_lo
	s_wait_alu 0xfffe
	s_cselect_b32 s6, s7, s5
	s_mov_b64 s[2:3], 1
	v_add_nc_u32_e32 v10, v8, v5
	v_add_nc_u32_e32 v11, v9, v4
	s_cselect_b32 s4, s7, s4
	s_delay_alu instid0(VALU_DEP_2) | instskip(NEXT) | instid1(VALU_DEP_2)
	v_xor_b32_e32 v26, v10, v1
	v_xor_b32_e32 v27, v11, v0
	s_delay_alu instid0(VALU_DEP_2) | instskip(NEXT) | instid1(VALU_DEP_2)
	v_alignbit_b32 v26, v26, v26, 20
	v_alignbit_b32 v27, v27, v27, 20
	s_delay_alu instid0(VALU_DEP_2) | instskip(NEXT) | instid1(VALU_DEP_2)
	v_add_nc_u32_e32 v28, v26, v21
	v_add_nc_u32_e32 v29, v27, v22
	s_delay_alu instid0(VALU_DEP_2) | instskip(NEXT) | instid1(VALU_DEP_2)
	v_xor_b32_e32 v8, v28, v8
	v_xor_b32_e32 v9, v29, v9
	v_add_nc_u32_e32 v28, v28, v23
	s_delay_alu instid0(VALU_DEP_3) | instskip(NEXT) | instid1(VALU_DEP_3)
	v_alignbit_b32 v8, v8, v8, 24
	v_alignbit_b32 v9, v9, v9, 24
	s_delay_alu instid0(VALU_DEP_2) | instskip(NEXT) | instid1(VALU_DEP_2)
	v_add_nc_u32_e32 v10, v8, v10
	v_add_nc_u32_e32 v11, v9, v11
	v_xor_b32_e32 v9, v9, v28
	v_xor_b32_e32 v8, v8, v24
	s_delay_alu instid0(VALU_DEP_4) | instskip(NEXT) | instid1(VALU_DEP_4)
	v_xor_b32_e32 v26, v10, v26
	v_xor_b32_e32 v27, v11, v27
	s_delay_alu instid0(VALU_DEP_4) | instskip(NEXT) | instid1(VALU_DEP_4)
	v_alignbit_b32 v9, v9, v9, 16
	v_alignbit_b32 v8, v8, v8, 16
	s_delay_alu instid0(VALU_DEP_4) | instskip(NEXT) | instid1(VALU_DEP_4)
	v_alignbit_b32 v26, v26, v26, 25
	v_alignbit_b32 v27, v27, v27, 25
	s_delay_alu instid0(VALU_DEP_4) | instskip(NEXT) | instid1(VALU_DEP_4)
	v_add_nc_u32_e32 v31, v9, v18
	v_add_nc_u32_e32 v11, v8, v11
	s_delay_alu instid0(VALU_DEP_4) | instskip(NEXT) | instid1(VALU_DEP_4)
	v_add_nc_u32_e32 v29, v26, v29
	v_add_nc_u32_e32 v30, v27, v15
	s_delay_alu instid0(VALU_DEP_4) | instskip(NEXT) | instid1(VALU_DEP_4)
	v_xor_b32_e32 v35, v31, v23
	v_xor_b32_e32 v34, v11, v20
	s_delay_alu instid0(VALU_DEP_4) | instskip(NEXT) | instid1(VALU_DEP_4)
	v_xor_b32_e32 v32, v29, v16
	v_xor_b32_e32 v33, v30, v17
	s_delay_alu instid0(VALU_DEP_4) | instskip(NEXT) | instid1(VALU_DEP_4)
	v_alignbit_b32 v35, v35, v35, 20
	v_alignbit_b32 v34, v34, v34, 20
	s_delay_alu instid0(VALU_DEP_4) | instskip(NEXT) | instid1(VALU_DEP_4)
	v_alignbit_b32 v32, v32, v32, 16
	v_alignbit_b32 v33, v33, v33, 16
	s_delay_alu instid0(VALU_DEP_4) | instskip(NEXT) | instid1(VALU_DEP_4)
	v_add_nc_u32_e32 v28, v35, v28
	v_add_nc_u32_e32 v37, v34, v24
	s_delay_alu instid0(VALU_DEP_4) | instskip(NEXT) | instid1(VALU_DEP_4)
	v_add_nc_u32_e32 v36, v32, v19
	v_add_nc_u32_e32 v10, v33, v10
	s_delay_alu instid0(VALU_DEP_4) | instskip(NEXT) | instid1(VALU_DEP_4)
	;; [unrolled: 18-line block ×73, first 2 shown]
	v_xor_b32_e32 v35, v31, v35
	v_xor_b32_e32 v34, v11, v34
	s_delay_alu instid0(VALU_DEP_4) | instskip(NEXT) | instid1(VALU_DEP_4)
	v_xor_b32_e32 v32, v29, v32
	v_xor_b32_e32 v33, v30, v33
	s_delay_alu instid0(VALU_DEP_4) | instskip(NEXT) | instid1(VALU_DEP_4)
	v_alignbit_b32 v35, v35, v35, 20
	v_alignbit_b32 v34, v34, v34, 20
	s_delay_alu instid0(VALU_DEP_4) | instskip(NEXT) | instid1(VALU_DEP_4)
	v_alignbit_b32 v32, v32, v32, 16
	v_alignbit_b32 v33, v33, v33, 16
	s_delay_alu instid0(VALU_DEP_4) | instskip(NEXT) | instid1(VALU_DEP_3)
	v_add_nc_u32_e32 v28, v35, v28
	v_add_nc_u32_e32 v36, v32, v36
	s_delay_alu instid0(VALU_DEP_3) | instskip(SKIP_1) | instid1(VALU_DEP_4)
	v_add_nc_u32_e32 v39, v33, v10
	v_add_nc_u32_e32 v10, v34, v37
	v_xor_b32_e32 v9, v28, v9
	s_delay_alu instid0(VALU_DEP_4) | instskip(NEXT) | instid1(VALU_DEP_4)
	v_xor_b32_e32 v26, v36, v26
	v_xor_b32_e32 v27, v39, v27
	s_delay_alu instid0(VALU_DEP_4) | instskip(NEXT) | instid1(VALU_DEP_4)
	v_xor_b32_e32 v8, v10, v8
	v_alignbit_b32 v41, v9, v9, 24
	v_add_nc_u32_e32 v9, 0x3320646e, v28
	v_alignbit_b32 v37, v26, v26, 20
	v_alignbit_b32 v40, v27, v27, 20
	;; [unrolled: 1-line block ×3, first 2 shown]
	v_add_nc_u32_e32 v26, v41, v25
	v_add_nc_u32_e32 v10, 0x79622d32, v10
	;; [unrolled: 1-line block ×7, first 2 shown]
	v_xor_b32_e32 v25, v29, v32
	v_xor_b32_e32 v28, v42, v33
	s_wait_alu 0xfffe
	s_mov_b32 s5, s6
	v_xor_b32_e32 v11, v8, v34
	v_xor_b32_e32 v31, v30, v35
	v_alignbit_b32 v25, v25, v25, 24
	v_alignbit_b32 v28, v28, v28, 24
	v_add_nc_u32_e32 v33, v30, v7
	v_alignbit_b32 v34, v11, v11, 25
	v_alignbit_b32 v31, v31, v31, 25
	v_add_nc_u32_e32 v32, v25, v36
	v_add_nc_u32_e32 v39, v28, v39
	;; [unrolled: 1-line block ×5, first 2 shown]
	v_xor_b32_e32 v35, v32, v37
	v_xor_b32_e32 v36, v39, v40
	v_add_nc_u32_e32 v37, v34, v3
	v_add_nc_u32_e32 v29, v25, v14
	v_mov_b32_e32 v25, v38
	v_alignbit_b32 v34, v35, v35, 25
	v_alignbit_b32 v40, v36, v36, 25
	v_add_nc_u32_e32 v36, v31, v2
	v_add_nc_u32_e32 v32, v32, v6
	;; [unrolled: 1-line block ×6, first 2 shown]
	s_clause 0x3
	scratch_store_b128 off, v[8:11], off offset:64
	scratch_store_b128 off, v[34:37], off offset:80
	;; [unrolled: 1-line block ×4, first 2 shown]
	s_branch .LBB0_27
.LBB0_32:
	s_endpgm
	.section	.rodata,"a",@progbits
	.p2align	6, 0x0
	.amdhsa_kernel _Z15test_keystreamsPKcS0_S0_PKhPhS3_S3_S3_iii
		.amdhsa_group_segment_fixed_size 0
		.amdhsa_private_segment_fixed_size 144
		.amdhsa_kernarg_size 336
		.amdhsa_user_sgpr_count 2
		.amdhsa_user_sgpr_dispatch_ptr 0
		.amdhsa_user_sgpr_queue_ptr 0
		.amdhsa_user_sgpr_kernarg_segment_ptr 1
		.amdhsa_user_sgpr_dispatch_id 0
		.amdhsa_user_sgpr_private_segment_size 0
		.amdhsa_wavefront_size32 1
		.amdhsa_uses_dynamic_stack 0
		.amdhsa_enable_private_segment 1
		.amdhsa_system_sgpr_workgroup_id_x 1
		.amdhsa_system_sgpr_workgroup_id_y 0
		.amdhsa_system_sgpr_workgroup_id_z 0
		.amdhsa_system_sgpr_workgroup_info 0
		.amdhsa_system_vgpr_workitem_id 0
		.amdhsa_next_free_vgpr 43
		.amdhsa_next_free_sgpr 21
		.amdhsa_reserve_vcc 1
		.amdhsa_float_round_mode_32 0
		.amdhsa_float_round_mode_16_64 0
		.amdhsa_float_denorm_mode_32 3
		.amdhsa_float_denorm_mode_16_64 3
		.amdhsa_fp16_overflow 0
		.amdhsa_workgroup_processor_mode 1
		.amdhsa_memory_ordered 1
		.amdhsa_forward_progress 1
		.amdhsa_inst_pref_size 89
		.amdhsa_round_robin_scheduling 0
		.amdhsa_exception_fp_ieee_invalid_op 0
		.amdhsa_exception_fp_denorm_src 0
		.amdhsa_exception_fp_ieee_div_zero 0
		.amdhsa_exception_fp_ieee_overflow 0
		.amdhsa_exception_fp_ieee_underflow 0
		.amdhsa_exception_fp_ieee_inexact 0
		.amdhsa_exception_int_div_zero 0
	.end_amdhsa_kernel
	.text
.Lfunc_end0:
	.size	_Z15test_keystreamsPKcS0_S0_PKhPhS3_S3_S3_iii, .Lfunc_end0-_Z15test_keystreamsPKcS0_S0_PKhPhS3_S3_S3_iii
                                        ; -- End function
	.set _Z15test_keystreamsPKcS0_S0_PKhPhS3_S3_S3_iii.num_vgpr, 43
	.set _Z15test_keystreamsPKcS0_S0_PKhPhS3_S3_S3_iii.num_agpr, 0
	.set _Z15test_keystreamsPKcS0_S0_PKhPhS3_S3_S3_iii.numbered_sgpr, 21
	.set _Z15test_keystreamsPKcS0_S0_PKhPhS3_S3_S3_iii.num_named_barrier, 0
	.set _Z15test_keystreamsPKcS0_S0_PKhPhS3_S3_S3_iii.private_seg_size, 144
	.set _Z15test_keystreamsPKcS0_S0_PKhPhS3_S3_S3_iii.uses_vcc, 1
	.set _Z15test_keystreamsPKcS0_S0_PKhPhS3_S3_S3_iii.uses_flat_scratch, 1
	.set _Z15test_keystreamsPKcS0_S0_PKhPhS3_S3_S3_iii.has_dyn_sized_stack, 0
	.set _Z15test_keystreamsPKcS0_S0_PKhPhS3_S3_S3_iii.has_recursion, 0
	.set _Z15test_keystreamsPKcS0_S0_PKhPhS3_S3_S3_iii.has_indirect_call, 0
	.section	.AMDGPU.csdata,"",@progbits
; Kernel info:
; codeLenInByte = 11364
; TotalNumSgprs: 23
; NumVgprs: 43
; ScratchSize: 144
; MemoryBound: 0
; FloatMode: 240
; IeeeMode: 1
; LDSByteSize: 0 bytes/workgroup (compile time only)
; SGPRBlocks: 0
; VGPRBlocks: 5
; NumSGPRsForWavesPerEU: 23
; NumVGPRsForWavesPerEU: 43
; Occupancy: 16
; WaveLimiterHint : 1
; COMPUTE_PGM_RSRC2:SCRATCH_EN: 1
; COMPUTE_PGM_RSRC2:USER_SGPR: 2
; COMPUTE_PGM_RSRC2:TRAP_HANDLER: 0
; COMPUTE_PGM_RSRC2:TGID_X_EN: 1
; COMPUTE_PGM_RSRC2:TGID_Y_EN: 0
; COMPUTE_PGM_RSRC2:TGID_Z_EN: 0
; COMPUTE_PGM_RSRC2:TIDIG_COMP_CNT: 0
	.text
	.p2alignl 7, 3214868480
	.fill 96, 4, 3214868480
	.section	.AMDGPU.gpr_maximums,"",@progbits
	.set amdgpu.max_num_vgpr, 0
	.set amdgpu.max_num_agpr, 0
	.set amdgpu.max_num_sgpr, 0
	.text
	.type	__hip_cuid_21bfdfea17519c25,@object ; @__hip_cuid_21bfdfea17519c25
	.section	.bss,"aw",@nobits
	.globl	__hip_cuid_21bfdfea17519c25
__hip_cuid_21bfdfea17519c25:
	.byte	0                               ; 0x0
	.size	__hip_cuid_21bfdfea17519c25, 1

	.ident	"AMD clang version 22.0.0git (https://github.com/RadeonOpenCompute/llvm-project roc-7.2.4 26084 f58b06dce1f9c15707c5f808fd002e18c2accf7e)"
	.section	".note.GNU-stack","",@progbits
	.addrsig
	.addrsig_sym __hip_cuid_21bfdfea17519c25
	.amdgpu_metadata
---
amdhsa.kernels:
  - .args:
      - .actual_access:  read_only
        .address_space:  global
        .offset:         0
        .size:           8
        .value_kind:     global_buffer
      - .actual_access:  read_only
        .address_space:  global
        .offset:         8
        .size:           8
        .value_kind:     global_buffer
      - .actual_access:  read_only
        .address_space:  global
        .offset:         16
        .size:           8
        .value_kind:     global_buffer
      - .actual_access:  read_only
        .address_space:  global
        .offset:         24
        .size:           8
        .value_kind:     global_buffer
      - .address_space:  global
        .offset:         32
        .size:           8
        .value_kind:     global_buffer
      - .address_space:  global
        .offset:         40
        .size:           8
        .value_kind:     global_buffer
      - .actual_access:  write_only
        .address_space:  global
        .offset:         48
        .size:           8
        .value_kind:     global_buffer
      - .address_space:  global
        .offset:         56
        .size:           8
        .value_kind:     global_buffer
      - .offset:         64
        .size:           4
        .value_kind:     by_value
      - .offset:         68
        .size:           4
        .value_kind:     by_value
      - .offset:         72
        .size:           4
        .value_kind:     by_value
      - .offset:         80
        .size:           4
        .value_kind:     hidden_block_count_x
      - .offset:         84
        .size:           4
        .value_kind:     hidden_block_count_y
      - .offset:         88
        .size:           4
        .value_kind:     hidden_block_count_z
      - .offset:         92
        .size:           2
        .value_kind:     hidden_group_size_x
      - .offset:         94
        .size:           2
        .value_kind:     hidden_group_size_y
      - .offset:         96
        .size:           2
        .value_kind:     hidden_group_size_z
      - .offset:         98
        .size:           2
        .value_kind:     hidden_remainder_x
      - .offset:         100
        .size:           2
        .value_kind:     hidden_remainder_y
      - .offset:         102
        .size:           2
        .value_kind:     hidden_remainder_z
      - .offset:         120
        .size:           8
        .value_kind:     hidden_global_offset_x
      - .offset:         128
        .size:           8
        .value_kind:     hidden_global_offset_y
      - .offset:         136
        .size:           8
        .value_kind:     hidden_global_offset_z
      - .offset:         144
        .size:           2
        .value_kind:     hidden_grid_dims
    .group_segment_fixed_size: 0
    .kernarg_segment_align: 8
    .kernarg_segment_size: 336
    .language:       OpenCL C
    .language_version:
      - 2
      - 0
    .max_flat_workgroup_size: 1024
    .name:           _Z15test_keystreamsPKcS0_S0_PKhPhS3_S3_S3_iii
    .private_segment_fixed_size: 144
    .sgpr_count:     23
    .sgpr_spill_count: 0
    .symbol:         _Z15test_keystreamsPKcS0_S0_PKhPhS3_S3_S3_iii.kd
    .uniform_work_group_size: 1
    .uses_dynamic_stack: false
    .vgpr_count:     43
    .vgpr_spill_count: 0
    .wavefront_size: 32
    .workgroup_processor_mode: 1
amdhsa.target:   amdgcn-amd-amdhsa--gfx1201
amdhsa.version:
  - 1
  - 2
...

	.end_amdgpu_metadata
